;; amdgpu-corpus repo=zjin-lcf/HeCBench kind=compiled arch=gfx1030 opt=O3
	.amdgcn_target "amdgcn-amd-amdhsa--gfx1030"
	.amdhsa_code_object_version 6
	.text
	.protected	_Z3lbmPKdPdPK15HIP_vector_typeIdLj4EEPS3_S5_S6_PKb7double8S9_S0_d ; -- Begin function _Z3lbmPKdPdPK15HIP_vector_typeIdLj4EEPS3_S5_S6_PKb7double8S9_S0_d
	.globl	_Z3lbmPKdPdPK15HIP_vector_typeIdLj4EEPS3_S5_S6_PKb7double8S9_S0_d
	.p2align	8
	.type	_Z3lbmPKdPdPK15HIP_vector_typeIdLj4EEPS3_S5_S6_PKb7double8S9_S0_d,@function
_Z3lbmPKdPdPK15HIP_vector_typeIdLj4EEPS3_S5_S6_PKb7double8S9_S0_d: ; @_Z3lbmPKdPdPK15HIP_vector_typeIdLj4EEPS3_S5_S6_PKb7double8S9_S0_d
; %bb.0:
	s_clause 0x1
	s_load_dword s0, s[4:5], 0xdc
	s_load_dwordx2 s[24:25], s[4:5], 0xd0
	s_waitcnt lgkmcnt(0)
	s_lshr_b32 s26, s0, 16
	s_and_b32 s10, s0, 0xffff
	v_mad_u64_u32 v[19:20], null, s7, s26, v[1:2]
	v_mad_u64_u32 v[16:17], null, s6, s10, v[0:1]
	s_clause 0x2
	s_load_dwordx2 s[0:1], s[4:5], 0x30
	s_load_dwordx2 s[2:3], s[4:5], 0x0
	;; [unrolled: 1-line block ×3, first 2 shown]
	s_mul_i32 s6, s24, s10
	s_load_dwordx2 s[10:11], s[4:5], 0x20
	v_mad_u64_u32 v[0:1], null, v19, s6, v[16:17]
	v_mov_b32_e32 v1, 0
	v_lshlrev_b64 v[17:18], 3, v[0:1]
	v_lshlrev_b64 v[1:2], 5, v[0:1]
	s_waitcnt lgkmcnt(0)
	global_load_ubyte v22, v0, s[0:1]
	v_add_co_u32 v3, vcc_lo, s2, v17
	v_add_co_ci_u32_e64 v4, null, s3, v18, vcc_lo
	v_add_co_u32 v5, vcc_lo, s8, v1
	v_add_co_ci_u32_e64 v6, null, s9, v2, vcc_lo
	v_add_co_u32 v8, vcc_lo, s10, v1
	v_add_co_ci_u32_e64 v9, null, s11, v2, vcc_lo
	global_load_dwordx2 v[20:21], v[3:4], off
	s_clause 0x1
	global_load_dwordx4 v[12:15], v[5:6], off offset:16
	global_load_dwordx4 v[4:7], v[5:6], off
	s_clause 0x1
	global_load_dwordx4 v[0:3], v[8:9], off offset:16
	global_load_dwordx4 v[8:11], v[8:9], off
	s_clause 0x1
	s_load_dwordx16 s[8:23], s[4:5], 0x40
	s_load_dwordx16 s[36:51], s[4:5], 0x80
	s_waitcnt vmcnt(5)
	v_and_b32_e32 v22, 1, v22
	v_cmp_eq_u32_e32 vcc_lo, 1, v22
	s_xor_b32 s0, vcc_lo, -1
	s_and_saveexec_b32 s7, s0
	s_cbranch_execz .LBB0_2
; %bb.1:
	s_waitcnt vmcnt(0)
	v_add_f64 v[22:23], v[4:5], v[8:9]
	v_add_f64 v[24:25], v[6:7], v[10:11]
	v_add_f64 v[26:27], v[12:13], v[0:1]
	v_add_f64 v[28:29], v[14:15], v[2:3]
	s_load_dwordx4 s[0:3], s[4:5], 0xc0
	v_add_f64 v[22:23], v[20:21], v[22:23]
	s_waitcnt lgkmcnt(0)
	s_clause 0x1
	s_load_dwordx16 s[52:67], s[0:1], 0x0
	s_load_dwordx2 s[0:1], s[0:1], 0x40
	v_add_f64 v[22:23], v[22:23], v[24:25]
	v_mul_f64 v[24:25], s[10:11], v[6:7]
	v_add_f64 v[22:23], v[22:23], v[26:27]
	v_mul_f64 v[26:27], s[14:15], v[14:15]
	v_fma_f64 v[24:25], s[8:9], v[4:5], v[24:25]
	v_add_f64 v[22:23], v[22:23], v[28:29]
	v_fma_f64 v[26:27], s[12:13], v[12:13], v[26:27]
	v_mul_f64 v[28:29], s[22:23], v[2:3]
	v_add_f64 v[24:25], v[24:25], v[26:27]
	v_mul_f64 v[26:27], s[18:19], v[10:11]
	v_fma_f64 v[28:29], s[20:21], v[0:1], v[28:29]
	v_fma_f64 v[26:27], s[16:17], v[8:9], v[26:27]
	v_add_f64 v[26:27], v[26:27], v[28:29]
	v_add_f64 v[24:25], v[24:25], v[26:27]
	v_div_scale_f64 v[26:27], null, v[22:23], v[22:23], v[24:25]
	v_rcp_f64_e32 v[28:29], v[26:27]
	v_fma_f64 v[30:31], -v[26:27], v[28:29], 1.0
	v_fma_f64 v[28:29], v[28:29], v[30:31], v[28:29]
	v_fma_f64 v[30:31], -v[26:27], v[28:29], 1.0
	v_fma_f64 v[28:29], v[28:29], v[30:31], v[28:29]
	v_div_scale_f64 v[30:31], vcc_lo, v[24:25], v[22:23], v[24:25]
	v_mul_f64 v[32:33], v[30:31], v[28:29]
	v_fma_f64 v[26:27], -v[26:27], v[32:33], v[30:31]
	v_mul_f64 v[30:31], s[50:51], v[2:3]
	v_div_fmas_f64 v[26:27], v[26:27], v[28:29], v[32:33]
	v_mul_f64 v[28:29], s[42:43], v[14:15]
	v_fma_f64 v[30:31], s[48:49], v[0:1], v[30:31]
	v_div_fixup_f64 v[24:25], v[26:27], v[22:23], v[24:25]
	v_mul_f64 v[26:27], s[38:39], v[6:7]
	v_fma_f64 v[28:29], s[40:41], v[12:13], v[28:29]
	v_fma_f64 v[26:27], s[36:37], v[4:5], v[26:27]
	v_add_f64 v[26:27], v[26:27], v[28:29]
	v_mul_f64 v[28:29], s[46:47], v[10:11]
	v_fma_f64 v[28:29], s[44:45], v[8:9], v[28:29]
	v_add_f64 v[28:29], v[28:29], v[30:31]
	v_add_f64 v[26:27], v[26:27], v[28:29]
	v_div_scale_f64 v[28:29], null, v[22:23], v[22:23], v[26:27]
	v_rcp_f64_e32 v[30:31], v[28:29]
	v_fma_f64 v[32:33], -v[28:29], v[30:31], 1.0
	v_fma_f64 v[30:31], v[30:31], v[32:33], v[30:31]
	v_fma_f64 v[32:33], -v[28:29], v[30:31], 1.0
	v_fma_f64 v[30:31], v[30:31], v[32:33], v[30:31]
	v_div_scale_f64 v[32:33], vcc_lo, v[26:27], v[22:23], v[26:27]
	v_mul_f64 v[34:35], v[32:33], v[30:31]
	v_fma_f64 v[28:29], -v[28:29], v[34:35], v[32:33]
	s_waitcnt lgkmcnt(0)
	v_mul_f64 v[32:33], v[22:23], s[52:53]
	v_div_fmas_f64 v[28:29], v[28:29], v[30:31], v[34:35]
	v_div_fixup_f64 v[26:27], v[28:29], v[22:23], v[26:27]
	v_mul_f64 v[30:31], v[26:27], 0
	v_mul_f64 v[28:29], v[26:27], v[26:27]
	v_fma_f64 v[30:31], v[24:25], 0, v[30:31]
	v_fma_f64 v[28:29], v[24:25], v[24:25], v[28:29]
	v_fma_f64 v[34:35], 0x40080000, v[30:31], 1.0
	v_mul_f64 v[36:37], 0x40120000, v[30:31]
	v_fma_f64 v[30:31], v[30:31], v[36:37], v[34:35]
	v_mul_f64 v[34:35], v[22:23], s[54:55]
	v_fma_f64 v[30:31], 0xbff80000, v[28:29], v[30:31]
	v_mul_f64 v[30:31], v[30:31], v[32:33]
	v_mul_f64 v[32:33], s[36:37], v[26:27]
	v_fma_f64 v[32:33], s[8:9], v[24:25], v[32:33]
	v_fma_f64 v[36:37], 0x40080000, v[32:33], 1.0
	v_mul_f64 v[38:39], 0x40120000, v[32:33]
	v_fma_f64 v[32:33], v[32:33], v[38:39], v[36:37]
	v_mul_f64 v[36:37], v[22:23], s[56:57]
	v_fma_f64 v[32:33], 0xbff80000, v[28:29], v[32:33]
	v_mul_f64 v[32:33], v[32:33], v[34:35]
	v_mul_f64 v[34:35], s[38:39], v[26:27]
	v_fma_f64 v[34:35], s[10:11], v[24:25], v[34:35]
	v_fma_f64 v[38:39], 0x40080000, v[34:35], 1.0
	v_mul_f64 v[40:41], 0x40120000, v[34:35]
	v_fma_f64 v[34:35], v[34:35], v[40:41], v[38:39]
	v_mul_f64 v[38:39], v[22:23], s[58:59]
	v_fma_f64 v[34:35], 0xbff80000, v[28:29], v[34:35]
	v_mul_f64 v[34:35], v[34:35], v[36:37]
	v_mul_f64 v[36:37], s[40:41], v[26:27]
	v_fma_f64 v[36:37], s[12:13], v[24:25], v[36:37]
	v_fma_f64 v[40:41], 0x40080000, v[36:37], 1.0
	v_mul_f64 v[42:43], 0x40120000, v[36:37]
	v_fma_f64 v[36:37], v[36:37], v[42:43], v[40:41]
	v_mul_f64 v[40:41], v[22:23], s[60:61]
	v_fma_f64 v[36:37], 0xbff80000, v[28:29], v[36:37]
	v_mul_f64 v[36:37], v[36:37], v[38:39]
	v_mul_f64 v[38:39], s[42:43], v[26:27]
	v_fma_f64 v[38:39], s[14:15], v[24:25], v[38:39]
	v_fma_f64 v[42:43], 0x40080000, v[38:39], 1.0
	v_mul_f64 v[44:45], 0x40120000, v[38:39]
	v_fma_f64 v[38:39], v[38:39], v[44:45], v[42:43]
	v_mul_f64 v[42:43], v[22:23], s[62:63]
	v_fma_f64 v[38:39], 0xbff80000, v[28:29], v[38:39]
	v_mul_f64 v[38:39], v[38:39], v[40:41]
	v_mul_f64 v[40:41], s[44:45], v[26:27]
	v_fma_f64 v[40:41], s[16:17], v[24:25], v[40:41]
	v_fma_f64 v[44:45], 0x40080000, v[40:41], 1.0
	v_mul_f64 v[46:47], 0x40120000, v[40:41]
	v_fma_f64 v[40:41], v[40:41], v[46:47], v[44:45]
	v_mul_f64 v[44:45], v[22:23], s[64:65]
	v_fma_f64 v[40:41], 0xbff80000, v[28:29], v[40:41]
	v_mul_f64 v[40:41], v[40:41], v[42:43]
	v_mul_f64 v[42:43], s[46:47], v[26:27]
	v_fma_f64 v[42:43], s[18:19], v[24:25], v[42:43]
	v_fma_f64 v[46:47], 0x40080000, v[42:43], 1.0
	v_mul_f64 v[48:49], 0x40120000, v[42:43]
	v_fma_f64 v[42:43], v[42:43], v[48:49], v[46:47]
	v_mul_f64 v[46:47], v[22:23], s[66:67]
	v_mul_f64 v[22:23], v[22:23], s[0:1]
	v_fma_f64 v[42:43], 0xbff80000, v[28:29], v[42:43]
	v_mul_f64 v[42:43], v[42:43], v[44:45]
	v_mul_f64 v[44:45], s[48:49], v[26:27]
	;; [unrolled: 1-line block ×3, first 2 shown]
	v_fma_f64 v[44:45], s[20:21], v[24:25], v[44:45]
	v_fma_f64 v[24:25], s[22:23], v[24:25], v[26:27]
	v_fma_f64 v[48:49], 0x40080000, v[44:45], 1.0
	v_mul_f64 v[50:51], 0x40120000, v[44:45]
	v_fma_f64 v[26:27], 0x40080000, v[24:25], 1.0
	v_fma_f64 v[44:45], v[44:45], v[50:51], v[48:49]
	v_fma_f64 v[44:45], 0xbff80000, v[28:29], v[44:45]
	v_mul_f64 v[44:45], v[44:45], v[46:47]
	v_mul_f64 v[46:47], 0x40120000, v[24:25]
	v_fma_f64 v[24:25], v[24:25], v[46:47], v[26:27]
	v_mul_f64 v[26:27], s[2:3], v[30:31]
	v_mul_f64 v[30:31], s[2:3], v[36:37]
	;; [unrolled: 3-line block ×3, first 2 shown]
	v_add_f64 v[24:25], -s[2:3], 1.0
	v_mul_f64 v[22:23], s[2:3], v[22:23]
	v_fma_f64 v[20:21], v[24:25], v[20:21], v[26:27]
	v_mul_f64 v[26:27], s[2:3], v[32:33]
	v_mul_f64 v[32:33], s[2:3], v[38:39]
	v_fma_f64 v[28:29], v[24:25], v[6:7], v[28:29]
	v_fma_f64 v[26:27], v[24:25], v[4:5], v[26:27]
	;; [unrolled: 1-line block ×4, first 2 shown]
	v_mul_f64 v[12:13], s[2:3], v[40:41]
	v_mul_f64 v[14:15], s[2:3], v[42:43]
	;; [unrolled: 1-line block ×3, first 2 shown]
	v_fma_f64 v[12:13], v[24:25], v[8:9], v[12:13]
	v_fma_f64 v[14:15], v[24:25], v[10:11], v[14:15]
	;; [unrolled: 1-line block ×4, first 2 shown]
	v_mov_b32_e32 v0, v12
	v_mov_b32_e32 v2, v14
	;; [unrolled: 1-line block ×8, first 2 shown]
.LBB0_2:
	s_or_b32 exec_lo, exec_lo, s7
	s_mul_i32 s0, s25, s26
	s_add_i32 s1, s6, -1
	s_add_i32 s0, s0, -1
	v_cmp_gt_u32_e32 vcc_lo, s1, v16
	v_cmp_gt_u32_e64 s0, s0, v19
	v_cmp_ne_u32_e64 s1, 0, v16
	v_cmp_ne_u32_e64 s2, 0, v19
	s_and_b32 s0, vcc_lo, s0
	s_and_b32 s0, s1, s0
	s_and_b32 s0, s2, s0
	s_and_saveexec_b32 s1, s0
	s_cbranch_execz .LBB0_4
; %bb.3:
	s_waitcnt lgkmcnt(0)
	v_cvt_i32_f64_e32 v22, s[36:37]
	v_cvt_i32_f64_e32 v23, s[38:39]
	;; [unrolled: 1-line block ×11, first 2 shown]
	s_clause 0x2
	s_load_dwordx2 s[24:25], s[4:5], 0x8
	s_load_dwordx2 s[2:3], s[4:5], 0x18
	;; [unrolled: 1-line block ×3, first 2 shown]
	v_cvt_i32_f64_e32 v33, s[14:15]
	v_cvt_i32_f64_e32 v35, s[18:19]
	;; [unrolled: 1-line block ×5, first 2 shown]
	v_add_nc_u32_e32 v22, v19, v22
	v_add_nc_u32_e32 v23, v19, v23
	;; [unrolled: 1-line block ×5, first 2 shown]
	v_mul_lo_u32 v22, v22, s6
	v_mul_lo_u32 v23, v23, s6
	;; [unrolled: 1-line block ×4, first 2 shown]
	v_add_nc_u32_e32 v26, v19, v26
	s_waitcnt lgkmcnt(0)
	v_add_co_u32 v17, vcc_lo, s24, v17
	v_mul_lo_u32 v27, v27, s6
	v_add3_u32 v22, v16, v30, v22
	v_add3_u32 v24, v16, v31, v23
	v_add_nc_u32_e32 v40, v19, v28
	v_add_nc_u32_e32 v29, v19, v29
	v_add3_u32 v19, v16, v32, v38
	v_add_co_ci_u32_e64 v18, null, s25, v18, vcc_lo
	v_ashrrev_i32_e32 v23, 31, v22
	v_mul_lo_u32 v39, v26, s6
	v_add3_u32 v26, v16, v33, v25
	v_ashrrev_i32_e32 v25, 31, v24
	s_waitcnt vmcnt(4)
	global_store_dwordx2 v[17:18], v[20:21], off
	v_ashrrev_i32_e32 v20, 31, v19
	v_lshlrev_b64 v[22:23], 5, v[22:23]
	v_add3_u32 v30, v16, v35, v27
	v_mul_lo_u32 v27, v40, s6
	v_lshlrev_b64 v[17:18], 5, v[24:25]
	v_mul_lo_u32 v29, v29, s6
	v_lshlrev_b64 v[19:20], 5, v[19:20]
	v_add3_u32 v28, v16, v34, v39
	v_add_co_u32 v21, vcc_lo, s2, v22
	v_add_co_ci_u32_e64 v22, null, s3, v23, vcc_lo
	v_add_co_u32 v17, vcc_lo, s2, v17
	v_add3_u32 v32, v16, v36, v27
	v_ashrrev_i32_e32 v27, 31, v26
	v_add_co_ci_u32_e64 v18, null, s3, v18, vcc_lo
	v_add_co_u32 v19, vcc_lo, s2, v19
	v_add3_u32 v16, v16, v37, v29
	v_ashrrev_i32_e32 v29, 31, v28
	v_add_co_ci_u32_e64 v20, null, s3, v20, vcc_lo
	v_ashrrev_i32_e32 v31, 31, v30
	s_waitcnt vmcnt(3)
	global_store_dwordx2 v[21:22], v[12:13], off
	v_lshlrev_b64 v[12:13], 5, v[26:27]
	v_ashrrev_i32_e32 v33, 31, v32
	global_store_dwordx2 v[17:18], v[14:15], off offset:8
	s_waitcnt vmcnt(2)
	global_store_dwordx2 v[19:20], v[4:5], off offset:16
	v_lshlrev_b64 v[4:5], 5, v[28:29]
	v_ashrrev_i32_e32 v17, 31, v16
	v_lshlrev_b64 v[14:15], 5, v[30:31]
	v_add_co_u32 v12, vcc_lo, s2, v12
	v_lshlrev_b64 v[18:19], 5, v[32:33]
	v_add_co_ci_u32_e64 v13, null, s3, v13, vcc_lo
	v_add_co_u32 v4, vcc_lo, s0, v4
	v_lshlrev_b64 v[16:17], 5, v[16:17]
	v_add_co_ci_u32_e64 v5, null, s1, v5, vcc_lo
	v_add_co_u32 v14, vcc_lo, s0, v14
	v_add_co_ci_u32_e64 v15, null, s1, v15, vcc_lo
	v_add_co_u32 v18, vcc_lo, s0, v18
	;; [unrolled: 2-line block ×3, first 2 shown]
	v_add_co_ci_u32_e64 v17, null, s1, v17, vcc_lo
	global_store_dwordx2 v[12:13], v[6:7], off offset:24
	s_waitcnt vmcnt(1)
	global_store_dwordx2 v[4:5], v[0:1], off
	global_store_dwordx2 v[14:15], v[2:3], off offset:8
	s_waitcnt vmcnt(0)
	global_store_dwordx2 v[18:19], v[8:9], off offset:16
	global_store_dwordx2 v[16:17], v[10:11], off offset:24
.LBB0_4:
	s_endpgm
	.section	.rodata,"a",@progbits
	.p2align	6, 0x0
	.amdhsa_kernel _Z3lbmPKdPdPK15HIP_vector_typeIdLj4EEPS3_S5_S6_PKb7double8S9_S0_d
		.amdhsa_group_segment_fixed_size 0
		.amdhsa_private_segment_fixed_size 0
		.amdhsa_kernarg_size 464
		.amdhsa_user_sgpr_count 6
		.amdhsa_user_sgpr_private_segment_buffer 1
		.amdhsa_user_sgpr_dispatch_ptr 0
		.amdhsa_user_sgpr_queue_ptr 0
		.amdhsa_user_sgpr_kernarg_segment_ptr 1
		.amdhsa_user_sgpr_dispatch_id 0
		.amdhsa_user_sgpr_flat_scratch_init 0
		.amdhsa_user_sgpr_private_segment_size 0
		.amdhsa_wavefront_size32 1
		.amdhsa_uses_dynamic_stack 0
		.amdhsa_system_sgpr_private_segment_wavefront_offset 0
		.amdhsa_system_sgpr_workgroup_id_x 1
		.amdhsa_system_sgpr_workgroup_id_y 1
		.amdhsa_system_sgpr_workgroup_id_z 0
		.amdhsa_system_sgpr_workgroup_info 0
		.amdhsa_system_vgpr_workitem_id 1
		.amdhsa_next_free_vgpr 52
		.amdhsa_next_free_sgpr 68
		.amdhsa_reserve_vcc 1
		.amdhsa_reserve_flat_scratch 0
		.amdhsa_float_round_mode_32 0
		.amdhsa_float_round_mode_16_64 0
		.amdhsa_float_denorm_mode_32 3
		.amdhsa_float_denorm_mode_16_64 3
		.amdhsa_dx10_clamp 1
		.amdhsa_ieee_mode 1
		.amdhsa_fp16_overflow 0
		.amdhsa_workgroup_processor_mode 1
		.amdhsa_memory_ordered 1
		.amdhsa_forward_progress 1
		.amdhsa_shared_vgpr_count 0
		.amdhsa_exception_fp_ieee_invalid_op 0
		.amdhsa_exception_fp_denorm_src 0
		.amdhsa_exception_fp_ieee_div_zero 0
		.amdhsa_exception_fp_ieee_overflow 0
		.amdhsa_exception_fp_ieee_underflow 0
		.amdhsa_exception_fp_ieee_inexact 0
		.amdhsa_exception_int_div_zero 0
	.end_amdhsa_kernel
	.text
.Lfunc_end0:
	.size	_Z3lbmPKdPdPK15HIP_vector_typeIdLj4EEPS3_S5_S6_PKb7double8S9_S0_d, .Lfunc_end0-_Z3lbmPKdPdPK15HIP_vector_typeIdLj4EEPS3_S5_S6_PKb7double8S9_S0_d
                                        ; -- End function
	.set _Z3lbmPKdPdPK15HIP_vector_typeIdLj4EEPS3_S5_S6_PKb7double8S9_S0_d.num_vgpr, 52
	.set _Z3lbmPKdPdPK15HIP_vector_typeIdLj4EEPS3_S5_S6_PKb7double8S9_S0_d.num_agpr, 0
	.set _Z3lbmPKdPdPK15HIP_vector_typeIdLj4EEPS3_S5_S6_PKb7double8S9_S0_d.numbered_sgpr, 68
	.set _Z3lbmPKdPdPK15HIP_vector_typeIdLj4EEPS3_S5_S6_PKb7double8S9_S0_d.num_named_barrier, 0
	.set _Z3lbmPKdPdPK15HIP_vector_typeIdLj4EEPS3_S5_S6_PKb7double8S9_S0_d.private_seg_size, 0
	.set _Z3lbmPKdPdPK15HIP_vector_typeIdLj4EEPS3_S5_S6_PKb7double8S9_S0_d.uses_vcc, 1
	.set _Z3lbmPKdPdPK15HIP_vector_typeIdLj4EEPS3_S5_S6_PKb7double8S9_S0_d.uses_flat_scratch, 0
	.set _Z3lbmPKdPdPK15HIP_vector_typeIdLj4EEPS3_S5_S6_PKb7double8S9_S0_d.has_dyn_sized_stack, 0
	.set _Z3lbmPKdPdPK15HIP_vector_typeIdLj4EEPS3_S5_S6_PKb7double8S9_S0_d.has_recursion, 0
	.set _Z3lbmPKdPdPK15HIP_vector_typeIdLj4EEPS3_S5_S6_PKb7double8S9_S0_d.has_indirect_call, 0
	.section	.AMDGPU.csdata,"",@progbits
; Kernel info:
; codeLenInByte = 2264
; TotalNumSgprs: 70
; NumVgprs: 52
; ScratchSize: 0
; MemoryBound: 0
; FloatMode: 240
; IeeeMode: 1
; LDSByteSize: 0 bytes/workgroup (compile time only)
; SGPRBlocks: 0
; VGPRBlocks: 6
; NumSGPRsForWavesPerEU: 70
; NumVGPRsForWavesPerEU: 52
; Occupancy: 16
; WaveLimiterHint : 0
; COMPUTE_PGM_RSRC2:SCRATCH_EN: 0
; COMPUTE_PGM_RSRC2:USER_SGPR: 6
; COMPUTE_PGM_RSRC2:TRAP_HANDLER: 0
; COMPUTE_PGM_RSRC2:TGID_X_EN: 1
; COMPUTE_PGM_RSRC2:TGID_Y_EN: 1
; COMPUTE_PGM_RSRC2:TGID_Z_EN: 0
; COMPUTE_PGM_RSRC2:TIDIG_COMP_CNT: 1
	.text
	.p2alignl 6, 3214868480
	.fill 48, 4, 3214868480
	.section	.AMDGPU.gpr_maximums,"",@progbits
	.set amdgpu.max_num_vgpr, 0
	.set amdgpu.max_num_agpr, 0
	.set amdgpu.max_num_sgpr, 0
	.text
	.type	__hip_cuid_f10de93a6f7945d3,@object ; @__hip_cuid_f10de93a6f7945d3
	.section	.bss,"aw",@nobits
	.globl	__hip_cuid_f10de93a6f7945d3
__hip_cuid_f10de93a6f7945d3:
	.byte	0                               ; 0x0
	.size	__hip_cuid_f10de93a6f7945d3, 1

	.ident	"AMD clang version 22.0.0git (https://github.com/RadeonOpenCompute/llvm-project roc-7.2.4 26084 f58b06dce1f9c15707c5f808fd002e18c2accf7e)"
	.section	".note.GNU-stack","",@progbits
	.addrsig
	.addrsig_sym __hip_cuid_f10de93a6f7945d3
	.amdgpu_metadata
---
amdhsa.kernels:
  - .args:
      - .actual_access:  read_only
        .address_space:  global
        .offset:         0
        .size:           8
        .value_kind:     global_buffer
      - .actual_access:  write_only
        .address_space:  global
        .offset:         8
        .size:           8
        .value_kind:     global_buffer
      - .actual_access:  read_only
        .address_space:  global
        .offset:         16
        .size:           8
        .value_kind:     global_buffer
      - .actual_access:  write_only
        .address_space:  global
        .offset:         24
        .size:           8
        .value_kind:     global_buffer
      - .actual_access:  read_only
        .address_space:  global
        .offset:         32
        .size:           8
        .value_kind:     global_buffer
      - .actual_access:  write_only
        .address_space:  global
        .offset:         40
        .size:           8
        .value_kind:     global_buffer
      - .actual_access:  read_only
        .address_space:  global
        .offset:         48
        .size:           8
        .value_kind:     global_buffer
      - .offset:         64
        .size:           64
        .value_kind:     by_value
      - .offset:         128
        .size:           64
        .value_kind:     by_value
      - .actual_access:  read_only
        .address_space:  global
        .offset:         192
        .size:           8
        .value_kind:     global_buffer
      - .offset:         200
        .size:           8
        .value_kind:     by_value
      - .offset:         208
        .size:           4
        .value_kind:     hidden_block_count_x
      - .offset:         212
        .size:           4
        .value_kind:     hidden_block_count_y
      - .offset:         216
        .size:           4
        .value_kind:     hidden_block_count_z
      - .offset:         220
        .size:           2
        .value_kind:     hidden_group_size_x
      - .offset:         222
        .size:           2
        .value_kind:     hidden_group_size_y
      - .offset:         224
        .size:           2
        .value_kind:     hidden_group_size_z
      - .offset:         226
        .size:           2
        .value_kind:     hidden_remainder_x
      - .offset:         228
        .size:           2
        .value_kind:     hidden_remainder_y
      - .offset:         230
        .size:           2
        .value_kind:     hidden_remainder_z
      - .offset:         248
        .size:           8
        .value_kind:     hidden_global_offset_x
      - .offset:         256
        .size:           8
        .value_kind:     hidden_global_offset_y
      - .offset:         264
        .size:           8
        .value_kind:     hidden_global_offset_z
      - .offset:         272
        .size:           2
        .value_kind:     hidden_grid_dims
    .group_segment_fixed_size: 0
    .kernarg_segment_align: 64
    .kernarg_segment_size: 464
    .language:       OpenCL C
    .language_version:
      - 2
      - 0
    .max_flat_workgroup_size: 1024
    .name:           _Z3lbmPKdPdPK15HIP_vector_typeIdLj4EEPS3_S5_S6_PKb7double8S9_S0_d
    .private_segment_fixed_size: 0
    .sgpr_count:     70
    .sgpr_spill_count: 0
    .symbol:         _Z3lbmPKdPdPK15HIP_vector_typeIdLj4EEPS3_S5_S6_PKb7double8S9_S0_d.kd
    .uniform_work_group_size: 1
    .uses_dynamic_stack: false
    .vgpr_count:     52
    .vgpr_spill_count: 0
    .wavefront_size: 32
    .workgroup_processor_mode: 1
amdhsa.target:   amdgcn-amd-amdhsa--gfx1030
amdhsa.version:
  - 1
  - 2
...

	.end_amdgpu_metadata
